;; amdgpu-corpus repo=ROCm/rocFFT kind=compiled arch=gfx950 opt=O3
	.text
	.amdgcn_target "amdgcn-amd-amdhsa--gfx950"
	.amdhsa_code_object_version 6
	.protected	bluestein_single_fwd_len275_dim1_sp_op_CI_CI ; -- Begin function bluestein_single_fwd_len275_dim1_sp_op_CI_CI
	.globl	bluestein_single_fwd_len275_dim1_sp_op_CI_CI
	.p2align	8
	.type	bluestein_single_fwd_len275_dim1_sp_op_CI_CI,@function
bluestein_single_fwd_len275_dim1_sp_op_CI_CI: ; @bluestein_single_fwd_len275_dim1_sp_op_CI_CI
; %bb.0:
	s_load_dwordx4 s[8:11], s[0:1], 0x28
	v_mul_u32_u24_e32 v1, 0x4a8, v0
	v_add_u32_sdwa v36, s2, v1 dst_sel:DWORD dst_unused:UNUSED_PAD src0_sel:DWORD src1_sel:WORD_1
	v_mov_b32_e32 v37, 0
	s_waitcnt lgkmcnt(0)
	v_cmp_gt_u64_e32 vcc, s[8:9], v[36:37]
	s_and_saveexec_b64 s[2:3], vcc
	s_cbranch_execz .LBB0_15
; %bb.1:
	s_load_dwordx2 s[8:9], s[0:1], 0x0
	s_load_dwordx2 s[12:13], s[0:1], 0x38
	v_mov_b32_e32 v2, 55
	v_mul_lo_u16_sdwa v1, v1, v2 dst_sel:DWORD dst_unused:UNUSED_PAD src0_sel:WORD_1 src1_sel:DWORD
	v_sub_u16_e32 v116, v0, v1
	v_cmp_gt_u16_e32 vcc, 25, v116
	v_lshlrev_b32_e32 v37, 3, v116
	s_and_saveexec_b64 s[2:3], vcc
	s_cbranch_execz .LBB0_3
; %bb.2:
	s_load_dwordx2 s[4:5], s[0:1], 0x18
	v_mov_b32_e32 v0, s10
	v_mov_b32_e32 v1, s11
	;; [unrolled: 1-line block ×3, first 2 shown]
	s_waitcnt lgkmcnt(0)
	s_load_dwordx4 s[4:7], s[4:5], 0x0
	s_waitcnt lgkmcnt(0)
	v_mad_u64_u32 v[2:3], s[10:11], s6, v36, 0
	v_mad_u64_u32 v[4:5], s[10:11], s4, v116, 0
	v_mov_b32_e32 v6, v3
	v_mov_b32_e32 v8, v5
	v_mad_u64_u32 v[6:7], s[6:7], s7, v36, v[6:7]
	v_mov_b32_e32 v3, v6
	v_mad_u64_u32 v[6:7], s[6:7], s5, v116, v[8:9]
	v_mov_b32_e32 v5, v6
	v_lshl_add_u64 v[0:1], v[2:3], 3, v[0:1]
	v_lshl_add_u64 v[0:1], v[4:5], 3, v[0:1]
	global_load_dwordx2 v[2:3], v[0:1], off
	v_mad_u64_u32 v[0:1], s[6:7], s4, v44, v[0:1]
	s_mul_i32 s10, s5, 0xc8
	v_add_u32_e32 v1, s10, v1
	global_load_dwordx2 v[4:5], v[0:1], off
	global_load_dwordx2 v[6:7], v37, s[8:9]
	v_mad_u64_u32 v[0:1], s[6:7], s4, v44, v[0:1]
	v_add_u32_e32 v1, s10, v1
	v_mad_u64_u32 v[10:11], s[6:7], s4, v44, v[0:1]
	v_add_u32_e32 v11, s10, v11
	global_load_dwordx2 v[8:9], v37, s[8:9] offset:200
	global_load_dwordx2 v[12:13], v37, s[8:9] offset:400
	;; [unrolled: 1-line block ×3, first 2 shown]
	global_load_dwordx2 v[16:17], v[0:1], off
	v_mad_u64_u32 v[0:1], s[6:7], s4, v44, v[10:11]
	v_add_u32_e32 v1, s10, v1
	global_load_dwordx2 v[18:19], v[10:11], off
	global_load_dwordx2 v[20:21], v[0:1], off
	v_mad_u64_u32 v[0:1], s[6:7], s4, v44, v[0:1]
	v_add_u32_e32 v1, s10, v1
	global_load_dwordx2 v[10:11], v37, s[8:9] offset:800
	global_load_dwordx2 v[22:23], v[0:1], off
	v_mad_u64_u32 v[0:1], s[6:7], s4, v44, v[0:1]
	v_add_u32_e32 v1, s10, v1
	global_load_dwordx2 v[26:27], v[0:1], off
	v_mad_u64_u32 v[0:1], s[6:7], s4, v44, v[0:1]
	v_add_u32_e32 v1, s10, v1
	global_load_dwordx2 v[24:25], v37, s[8:9] offset:1000
	global_load_dwordx2 v[28:29], v37, s[8:9] offset:1200
	global_load_dwordx2 v[30:31], v[0:1], off
	global_load_dwordx2 v[32:33], v37, s[8:9] offset:1400
	v_mad_u64_u32 v[0:1], s[6:7], s4, v44, v[0:1]
	v_add_u32_e32 v1, s10, v1
	global_load_dwordx2 v[34:35], v[0:1], off
	global_load_dwordx2 v[38:39], v37, s[8:9] offset:1600
	v_mad_u64_u32 v[0:1], s[6:7], s4, v44, v[0:1]
	v_add_u32_e32 v1, s10, v1
	;; [unrolled: 4-line block ×3, first 2 shown]
	global_load_dwordx2 v[44:45], v37, s[8:9] offset:2000
	global_load_dwordx2 v[46:47], v[0:1], off
	s_waitcnt vmcnt(19)
	v_mul_f32_e32 v0, v3, v7
	v_mul_f32_e32 v1, v2, v7
	v_fmac_f32_e32 v0, v2, v6
	v_fma_f32 v1, v3, v6, -v1
	s_waitcnt vmcnt(18)
	v_mul_f32_e32 v2, v5, v9
	v_mul_f32_e32 v3, v4, v9
	v_fmac_f32_e32 v2, v4, v8
	v_fma_f32 v3, v5, v8, -v3
	ds_write2_b64 v37, v[0:1], v[2:3] offset1:25
	s_waitcnt vmcnt(15)
	v_mul_f32_e32 v0, v17, v13
	v_mul_f32_e32 v1, v16, v13
	s_waitcnt vmcnt(14)
	v_mul_f32_e32 v2, v19, v15
	v_mul_f32_e32 v3, v18, v15
	v_fmac_f32_e32 v0, v16, v12
	v_fma_f32 v1, v17, v12, -v1
	v_fmac_f32_e32 v2, v18, v14
	v_fma_f32 v3, v19, v14, -v3
	ds_write2_b64 v37, v[0:1], v[2:3] offset0:50 offset1:75
	s_waitcnt vmcnt(12)
	v_mul_f32_e32 v0, v21, v11
	v_mul_f32_e32 v1, v20, v11
	v_fmac_f32_e32 v0, v20, v10
	s_waitcnt vmcnt(9)
	v_mul_f32_e32 v2, v23, v25
	v_mul_f32_e32 v3, v22, v25
	v_fma_f32 v1, v21, v10, -v1
	v_fmac_f32_e32 v2, v22, v24
	v_fma_f32 v3, v23, v24, -v3
	ds_write2_b64 v37, v[0:1], v[2:3] offset0:100 offset1:125
	s_waitcnt vmcnt(8)
	v_mul_f32_e32 v0, v27, v29
	v_mul_f32_e32 v1, v26, v29
	s_waitcnt vmcnt(6)
	v_mul_f32_e32 v2, v31, v33
	v_mul_f32_e32 v3, v30, v33
	v_fmac_f32_e32 v0, v26, v28
	v_fma_f32 v1, v27, v28, -v1
	v_fmac_f32_e32 v2, v30, v32
	v_fma_f32 v3, v31, v32, -v3
	ds_write2_b64 v37, v[0:1], v[2:3] offset0:150 offset1:175
	s_waitcnt vmcnt(4)
	v_mul_f32_e32 v0, v35, v39
	v_mul_f32_e32 v1, v34, v39
	s_waitcnt vmcnt(2)
	v_mul_f32_e32 v2, v41, v43
	v_mul_f32_e32 v3, v40, v43
	v_fmac_f32_e32 v0, v34, v38
	v_fma_f32 v1, v35, v38, -v1
	v_fmac_f32_e32 v2, v40, v42
	v_fma_f32 v3, v41, v42, -v3
	ds_write2_b64 v37, v[0:1], v[2:3] offset0:200 offset1:225
	s_waitcnt vmcnt(0)
	v_mul_f32_e32 v0, v47, v45
	v_mul_f32_e32 v1, v46, v45
	v_fmac_f32_e32 v0, v46, v44
	v_fma_f32 v1, v47, v44, -v1
	ds_write_b64 v37, v[0:1] offset:2000
.LBB0_3:
	s_or_b64 exec, exec, s[2:3]
	s_load_dwordx2 s[2:3], s[0:1], 0x20
	s_load_dwordx2 s[4:5], s[0:1], 0x8
	v_mov_b64_e32 v[0:1], 0
	s_waitcnt lgkmcnt(0)
	; wave barrier
	s_waitcnt lgkmcnt(0)
                                        ; implicit-def: $vgpr4
                                        ; implicit-def: $vgpr14
                                        ; implicit-def: $vgpr28
                                        ; implicit-def: $vgpr18
                                        ; implicit-def: $vgpr24
	s_and_saveexec_b64 s[0:1], vcc
	s_cbranch_execz .LBB0_5
; %bb.4:
	ds_read2_b64 v[0:3], v37 offset1:25
	ds_read2_b64 v[16:19], v37 offset0:50 offset1:75
	ds_read2_b64 v[12:15], v37 offset0:100 offset1:125
	;; [unrolled: 1-line block ×4, first 2 shown]
	ds_read_b64 v[24:25], v37 offset:2000
.LBB0_5:
	s_or_b64 exec, exec, s[0:1]
	s_waitcnt lgkmcnt(0)
	v_pk_add_f32 v[38:39], v[2:3], v[24:25] neg_lo:[0,1] neg_hi:[0,1]
	s_mov_b32 s20, 0xbf68dda4
	v_pk_add_f32 v[26:27], v[24:25], v[2:3]
	s_mov_b32 s6, 0xbf4178ce
	v_pk_add_f32 v[104:105], v[16:17], v[30:31] neg_lo:[0,1] neg_hi:[0,1]
	s_mov_b32 s16, 0x3ed4b147
	v_pk_mul_f32 v[8:9], v[38:39], s[20:21] op_sel:[1,0] op_sel_hi:[0,0]
	s_mov_b32 s0, 0xbf27a4f4
	v_pk_add_f32 v[54:55], v[30:31], v[16:17]
	v_pk_fma_f32 v[40:41], v[26:27], s[16:17], v[8:9] op_sel_hi:[1,0,1]
	v_pk_fma_f32 v[42:43], v[26:27], s[16:17], v[8:9] op_sel_hi:[1,0,1] neg_lo:[0,0,1] neg_hi:[0,0,1]
	v_pk_mul_f32 v[20:21], v[104:105], s[6:7] op_sel:[1,0] op_sel_hi:[0,0]
	v_mov_b32_e32 v8, v40
	v_mov_b32_e32 v9, v43
	s_mov_b32 s18, 0xbf7d64f0
	v_pk_fma_f32 v[48:49], v[54:55], s[0:1], v[20:21] op_sel_hi:[1,0,1]
	v_pk_fma_f32 v[50:51], v[54:55], s[0:1], v[20:21] op_sel_hi:[1,0,1] neg_lo:[0,0,1] neg_hi:[0,0,1]
	v_pk_add_f32 v[8:9], v[8:9], v[0:1]
	s_mov_b32 s14, 0xbe11bafb
	v_pk_mul_f32 v[10:11], v[38:39], s[18:19] op_sel:[1,0] op_sel_hi:[0,0]
	v_mov_b32_e32 v20, v48
	v_mov_b32_e32 v21, v51
	s_mov_b32 s22, 0x3e903f40
	v_pk_fma_f32 v[32:33], v[26:27], s[14:15], v[10:11] op_sel_hi:[1,0,1]
	v_pk_fma_f32 v[34:35], v[26:27], s[14:15], v[10:11] op_sel_hi:[1,0,1] neg_lo:[0,0,1] neg_hi:[0,0,1]
	s_mov_b32 s10, 0xbf75a155
	v_pk_add_f32 v[8:9], v[20:21], v[8:9]
	v_pk_mul_f32 v[20:21], v[104:105], s[22:23] op_sel:[1,0] op_sel_hi:[0,0]
	v_mov_b32_e32 v10, v32
	v_mov_b32_e32 v11, v35
	v_pk_fma_f32 v[44:45], v[54:55], s[10:11], v[20:21] op_sel_hi:[1,0,1]
	v_pk_fma_f32 v[46:47], v[54:55], s[10:11], v[20:21] op_sel_hi:[1,0,1] neg_lo:[0,0,1] neg_hi:[0,0,1]
	v_pk_add_f32 v[106:107], v[18:19], v[28:29] neg_lo:[0,1] neg_hi:[0,1]
	v_pk_add_f32 v[10:11], v[10:11], v[0:1]
	v_mov_b32_e32 v20, v44
	v_mov_b32_e32 v21, v47
	v_pk_add_f32 v[52:53], v[28:29], v[18:19]
	v_pk_add_f32 v[10:11], v[20:21], v[10:11]
	v_pk_mul_f32 v[20:21], v[106:107], s[22:23] op_sel:[1,0] op_sel_hi:[0,0]
	v_pk_fma_f32 v[60:61], v[52:53], s[10:11], v[20:21] op_sel_hi:[1,0,1]
	v_pk_fma_f32 v[62:63], v[52:53], s[10:11], v[20:21] op_sel_hi:[1,0,1] neg_lo:[0,0,1] neg_hi:[0,0,1]
	v_mov_b32_e32 v20, v60
	v_mov_b32_e32 v21, v63
	s_mov_b32 s22, 0x3f68dda4
	v_pk_add_f32 v[8:9], v[20:21], v[8:9]
	v_pk_mul_f32 v[20:21], v[106:107], s[22:23] op_sel:[1,0] op_sel_hi:[0,0]
	v_pk_fma_f32 v[56:57], v[52:53], s[16:17], v[20:21] op_sel_hi:[1,0,1]
	v_pk_fma_f32 v[58:59], v[52:53], s[16:17], v[20:21] op_sel_hi:[1,0,1] neg_lo:[0,0,1] neg_hi:[0,0,1]
	v_mov_b32_e32 v20, v56
	v_mov_b32_e32 v21, v59
	s_mov_b32 s28, 0x3f7d64f0
	v_pk_add_f32 v[108:109], v[12:13], v[6:7] neg_lo:[0,1] neg_hi:[0,1]
	v_pk_add_f32 v[10:11], v[20:21], v[10:11]
	v_pk_add_f32 v[110:111], v[6:7], v[12:13]
	v_pk_mul_f32 v[20:21], v[108:109], s[28:29] op_sel:[1,0] op_sel_hi:[0,0]
	v_pk_fma_f32 v[68:69], v[110:111], s[14:15], v[20:21] op_sel_hi:[1,0,1]
	v_pk_fma_f32 v[70:71], v[110:111], s[14:15], v[20:21] op_sel_hi:[1,0,1] neg_lo:[0,0,1] neg_hi:[0,0,1]
	v_mov_b32_e32 v20, v68
	v_mov_b32_e32 v21, v71
	s_mov_b32 s26, 0xbf0a6770
	v_pk_add_f32 v[8:9], v[20:21], v[8:9]
	s_mov_b32 s24, 0x3f575c64
	v_pk_mul_f32 v[20:21], v[108:109], s[26:27] op_sel:[1,0] op_sel_hi:[0,0]
	v_pk_fma_f32 v[64:65], v[110:111], s[24:25], v[20:21] op_sel_hi:[1,0,1]
	v_pk_fma_f32 v[66:67], v[110:111], s[24:25], v[20:21] op_sel_hi:[1,0,1] neg_lo:[0,0,1] neg_hi:[0,0,1]
	v_mov_b32_e32 v20, v64
	v_mov_b32_e32 v21, v67
	s_mov_b32 s30, 0x3f0a6770
	v_pk_add_f32 v[112:113], v[14:15], v[4:5] neg_lo:[0,1] neg_hi:[0,1]
	v_pk_add_f32 v[20:21], v[20:21], v[10:11]
	v_pk_add_f32 v[114:115], v[4:5], v[14:15]
	v_pk_mul_f32 v[10:11], v[112:113], s[30:31] op_sel:[1,0] op_sel_hi:[0,0]
	v_pk_fma_f32 v[82:83], v[114:115], s[24:25], v[10:11] op_sel_hi:[1,0,1]
	v_pk_fma_f32 v[84:85], v[114:115], s[24:25], v[10:11] op_sel_hi:[1,0,1] neg_lo:[0,0,1] neg_hi:[0,0,1]
	v_mov_b32_e32 v10, v82
	v_mov_b32_e32 v11, v85
	v_pk_add_f32 v[10:11], v[10:11], v[8:9]
	v_pk_mul_f32 v[8:9], v[112:113], s[6:7] op_sel:[1,0] op_sel_hi:[0,0]
	v_pk_fma_f32 v[74:75], v[114:115], s[0:1], v[8:9] op_sel_hi:[1,0,1]
	v_pk_fma_f32 v[76:77], v[114:115], s[0:1], v[8:9] op_sel_hi:[1,0,1] neg_lo:[0,0,1] neg_hi:[0,0,1]
	v_mov_b32_e32 v8, v74
	v_mov_b32_e32 v9, v77
	v_pk_add_f32 v[8:9], v[8:9], v[20:21]
	v_pk_mul_f32 v[20:21], v[38:39], s[6:7] op_sel:[1,0] op_sel_hi:[0,0]
	v_pk_fma_f32 v[98:99], v[26:27], s[0:1], v[20:21] op_sel_hi:[1,0,1]
	v_pk_fma_f32 v[72:73], v[26:27], s[0:1], v[20:21] op_sel_hi:[1,0,1] neg_lo:[0,0,1] neg_hi:[0,0,1]
	v_pk_mul_f32 v[22:23], v[104:105], s[28:29] op_sel:[1,0] op_sel_hi:[0,0]
	v_mov_b32_e32 v20, v98
	v_mov_b32_e32 v21, v73
	v_pk_fma_f32 v[78:79], v[54:55], s[14:15], v[22:23] op_sel_hi:[1,0,1]
	v_pk_fma_f32 v[80:81], v[54:55], s[14:15], v[22:23] op_sel_hi:[1,0,1] neg_lo:[0,0,1] neg_hi:[0,0,1]
	s_mov_b32 s28, 0xbe903f40
	v_pk_add_f32 v[20:21], v[20:21], v[0:1]
	v_mov_b32_e32 v22, v78
	v_mov_b32_e32 v23, v81
	v_pk_mul_f32 v[86:87], v[38:39], s[28:29] op_sel:[1,0] op_sel_hi:[0,0]
	v_pk_add_f32 v[20:21], v[22:23], v[20:21]
	v_pk_mul_f32 v[22:23], v[54:55], s[24:25] op_sel_hi:[1,0]
	v_pk_fma_f32 v[122:123], v[26:27], s[10:11], v[86:87] op_sel_hi:[1,0,1] neg_lo:[0,0,1] neg_hi:[0,0,1]
	v_pk_fma_f32 v[86:87], v[26:27], s[10:11], v[86:87] op_sel_hi:[1,0,1]
	v_pk_fma_f32 v[118:119], v[104:105], s[30:31], v[22:23] op_sel:[1,0,0] op_sel_hi:[0,0,1] neg_lo:[1,0,0] neg_hi:[1,0,0]
	v_pk_fma_f32 v[120:121], v[104:105], s[30:31], v[22:23] op_sel:[1,0,0] op_sel_hi:[0,0,1]
	v_mov_b32_e32 v125, v87
	v_mov_b32_e32 v87, v123
	;; [unrolled: 1-line block ×4, first 2 shown]
	v_pk_add_f32 v[86:87], v[86:87], v[0:1]
	v_pk_mul_f32 v[88:89], v[106:107], s[26:27] op_sel:[1,0] op_sel_hi:[0,0]
	v_pk_add_f32 v[22:23], v[22:23], v[86:87]
	v_pk_fma_f32 v[86:87], v[52:53], s[24:25], v[88:89] op_sel_hi:[1,0,1]
	v_pk_fma_f32 v[88:89], v[52:53], s[24:25], v[88:89] op_sel_hi:[1,0,1] neg_lo:[0,0,1] neg_hi:[0,0,1]
	v_mov_b32_e32 v90, v86
	v_mov_b32_e32 v91, v89
	v_pk_add_f32 v[20:21], v[90:91], v[20:21]
	v_pk_mul_f32 v[90:91], v[52:53], s[0:1] op_sel_hi:[1,0]
	v_pk_mul_f32 v[92:93], v[108:109], s[28:29] op_sel:[1,0] op_sel_hi:[0,0]
	v_pk_fma_f32 v[126:127], v[106:107], s[6:7], v[90:91] op_sel:[1,0,0] op_sel_hi:[0,0,1] neg_lo:[1,0,0] neg_hi:[1,0,0]
	v_pk_fma_f32 v[90:91], v[106:107], s[6:7], v[90:91] op_sel:[1,0,0] op_sel_hi:[0,0,1]
	v_mov_b32_e32 v123, v91
	v_mov_b32_e32 v91, v127
	v_pk_add_f32 v[22:23], v[90:91], v[22:23]
	v_pk_fma_f32 v[90:91], v[110:111], s[10:11], v[92:93] op_sel_hi:[1,0,1]
	v_pk_fma_f32 v[92:93], v[110:111], s[10:11], v[92:93] op_sel_hi:[1,0,1] neg_lo:[0,0,1] neg_hi:[0,0,1]
	v_mov_b32_e32 v94, v90
	v_mov_b32_e32 v95, v93
	v_pk_add_f32 v[20:21], v[94:95], v[20:21]
	v_pk_mul_f32 v[94:95], v[108:109], s[22:23] op_sel:[1,0] op_sel_hi:[0,0]
	v_pk_fma_f32 v[128:129], v[110:111], s[16:17], v[94:95] op_sel_hi:[1,0,1] neg_lo:[0,0,1] neg_hi:[0,0,1]
	v_pk_fma_f32 v[94:95], v[110:111], s[16:17], v[94:95] op_sel_hi:[1,0,1]
	v_pk_mul_f32 v[38:39], v[38:39], s[26:27] op_sel:[1,0] op_sel_hi:[0,0]
	v_mov_b32_e32 v127, v95
	v_mov_b32_e32 v95, v129
	v_pk_add_f32 v[100:101], v[94:95], v[22:23]
	v_pk_mul_f32 v[22:23], v[112:113], s[22:23] op_sel:[1,0] op_sel_hi:[0,0]
	v_pk_fma_f32 v[94:95], v[114:115], s[16:17], v[22:23] op_sel_hi:[1,0,1]
	v_pk_fma_f32 v[96:97], v[114:115], s[16:17], v[22:23] op_sel_hi:[1,0,1] neg_lo:[0,0,1] neg_hi:[0,0,1]
	v_mov_b32_e32 v22, v94
	v_mov_b32_e32 v23, v97
	v_pk_add_f32 v[22:23], v[22:23], v[20:21]
	v_pk_mul_f32 v[20:21], v[112:113], s[18:19] op_sel:[1,0] op_sel_hi:[0,0]
	v_pk_fma_f32 v[130:131], v[114:115], s[14:15], v[20:21] op_sel_hi:[1,0,1] neg_lo:[0,0,1] neg_hi:[0,0,1]
	v_pk_fma_f32 v[20:21], v[114:115], s[14:15], v[20:21] op_sel_hi:[1,0,1]
	v_pk_fma_f32 v[102:103], v[26:27], s[24:25], v[38:39] op_sel_hi:[1,0,1] neg_lo:[0,0,1] neg_hi:[0,0,1]
	v_mov_b32_e32 v129, v21
	v_mov_b32_e32 v21, v131
	v_pk_add_f32 v[20:21], v[20:21], v[100:101]
	v_pk_fma_f32 v[100:101], v[26:27], s[24:25], v[38:39] op_sel_hi:[1,0,1]
	v_pk_mul_f32 v[26:27], v[104:105], s[20:21] op_sel:[1,0] op_sel_hi:[0,0]
	v_pk_fma_f32 v[104:105], v[54:55], s[16:17], v[26:27] op_sel_hi:[1,0,1]
	v_pk_fma_f32 v[54:55], v[54:55], s[16:17], v[26:27] op_sel_hi:[1,0,1] neg_lo:[0,0,1] neg_hi:[0,0,1]
	v_mov_b32_e32 v26, v100
	v_mov_b32_e32 v27, v103
	;; [unrolled: 1-line block ×3, first 2 shown]
	v_pk_add_f32 v[26:27], v[26:27], v[0:1]
	v_mov_b32_e32 v38, v104
	v_mov_b32_e32 v39, v55
	v_pk_add_f32 v[26:27], v[38:39], v[26:27]
	v_mov_b32_e32 v119, v121
	v_pk_add_f32 v[38:39], v[124:125], v[0:1]
	;; [unrolled: 2-line block ×3, first 2 shown]
	v_pk_mul_f32 v[118:119], v[106:107], s[18:19] op_sel:[1,0] op_sel_hi:[0,0]
	v_pk_fma_f32 v[106:107], v[52:53], s[14:15], v[118:119] op_sel_hi:[1,0,1]
	v_pk_fma_f32 v[52:53], v[52:53], s[14:15], v[118:119] op_sel_hi:[1,0,1] neg_lo:[0,0,1] neg_hi:[0,0,1]
	v_mov_b32_e32 v118, v106
	v_mov_b32_e32 v119, v53
	v_pk_add_f32 v[26:27], v[118:119], v[26:27]
	v_pk_mul_f32 v[118:119], v[108:109], s[6:7] op_sel:[1,0] op_sel_hi:[0,0]
	v_pk_fma_f32 v[108:109], v[110:111], s[0:1], v[118:119] op_sel_hi:[1,0,1]
	v_pk_fma_f32 v[110:111], v[110:111], s[0:1], v[118:119] op_sel_hi:[1,0,1] neg_lo:[0,0,1] neg_hi:[0,0,1]
	v_pk_add_f32 v[38:39], v[122:123], v[38:39]
	v_mov_b32_e32 v118, v108
	v_mov_b32_e32 v119, v111
	;; [unrolled: 1-line block ×3, first 2 shown]
	v_pk_add_f32 v[26:27], v[118:119], v[26:27]
	v_pk_add_f32 v[118:119], v[126:127], v[38:39]
	v_pk_mul_f32 v[38:39], v[112:113], s[28:29] op_sel:[1,0] op_sel_hi:[0,0]
	v_pk_fma_f32 v[112:113], v[114:115], s[10:11], v[38:39] op_sel_hi:[1,0,1]
	v_pk_fma_f32 v[114:115], v[114:115], s[10:11], v[38:39] op_sel_hi:[1,0,1] neg_lo:[0,0,1] neg_hi:[0,0,1]
	v_mov_b32_e32 v38, v112
	v_mov_b32_e32 v39, v115
	;; [unrolled: 1-line block ×3, first 2 shown]
	v_pk_add_f32 v[38:39], v[38:39], v[26:27]
	v_pk_add_f32 v[26:27], v[128:129], v[118:119]
	v_mul_lo_u16_e32 v60, 11, v116
	s_waitcnt lgkmcnt(0)
	; wave barrier
	s_and_saveexec_b64 s[0:1], vcc
	s_cbranch_execz .LBB0_7
; %bb.6:
	v_pk_add_f32 v[2:3], v[2:3], v[0:1]
	v_mov_b32_e32 v103, v101
	v_pk_add_f32 v[2:3], v[16:17], v[2:3]
	v_mov_b32_e32 v55, v105
	;; [unrolled: 2-line block ×5, first 2 shown]
	v_pk_add_f32 v[2:3], v[4:5], v[2:3]
	v_pk_add_f32 v[4:5], v[102:103], v[0:1]
	;; [unrolled: 1-line block ×8, first 2 shown]
	v_mov_b32_e32 v73, v99
	v_lshlrev_b32_e32 v32, 3, v60
	v_pk_add_f32 v[2:3], v[24:25], v[2:3]
	v_pk_add_f32 v[4:5], v[114:115], v[4:5]
	v_mov_b32_e32 v43, v41
	v_mov_b32_e32 v35, v33
	ds_write2_b64 v32, v[2:3], v[4:5] offset1:1
	v_pk_add_f32 v[2:3], v[42:43], v[0:1]
	v_mov_b32_e32 v51, v49
	v_pk_add_f32 v[4:5], v[34:35], v[0:1]
	v_mov_b32_e32 v47, v45
	;; [unrolled: 2-line block ×12, first 2 shown]
	v_pk_add_f32 v[2:3], v[84:85], v[2:3]
	v_pk_add_f32 v[4:5], v[76:77], v[4:5]
	;; [unrolled: 1-line block ×3, first 2 shown]
	ds_write2_b64 v32, v[2:3], v[4:5] offset0:2 offset1:3
	ds_write2_b64 v32, v[0:1], v[26:27] offset0:4 offset1:5
	;; [unrolled: 1-line block ×4, first 2 shown]
	ds_write_b64 v32, v[38:39] offset:80
.LBB0_7:
	s_or_b64 exec, exec, s[0:1]
	s_movk_i32 s6, 0x75
	v_mul_lo_u16_sdwa v0, v116, s6 dst_sel:DWORD dst_unused:UNUSED_PAD src0_sel:BYTE_0 src1_sel:DWORD
	v_sub_u16_sdwa v1, v116, v0 dst_sel:DWORD dst_unused:UNUSED_PAD src0_sel:DWORD src1_sel:BYTE_1
	v_lshrrev_b16_e32 v1, 1, v1
	v_and_b32_e32 v1, 0x7f, v1
	v_add_u16_sdwa v0, v1, v0 dst_sel:DWORD dst_unused:UNUSED_PAD src0_sel:DWORD src1_sel:BYTE_1
	v_lshrrev_b16_e32 v28, 3, v0
	v_mul_lo_u16_e32 v0, 11, v28
	v_sub_u16_e32 v0, v116, v0
	v_and_b32_e32 v29, 0xff, v0
	v_lshlrev_b32_e32 v12, 5, v29
	s_load_dwordx4 s[0:3], s[2:3], 0x0
	s_waitcnt lgkmcnt(0)
	; wave barrier
	s_waitcnt lgkmcnt(0)
	global_load_dwordx4 v[4:7], v12, s[4:5]
	global_load_dwordx4 v[0:3], v12, s[4:5] offset:16
	ds_read2_b64 v[12:15], v37 offset1:55
	ds_read2_b64 v[16:19], v37 offset0:110 offset1:165
	ds_read_b64 v[24:25], v37 offset:1760
	v_mul_u32_u24_e32 v28, 55, v28
	v_add_lshl_u32 v56, v28, v29, 3
	s_mov_b32 s10, 0x3f737871
	s_mov_b32 s14, 0x3f167918
	s_mov_b32 s6, 0x3e9e377a
	v_lshlrev_b32_e32 v48, 5, v116
	s_waitcnt lgkmcnt(0)
	; wave barrier
	s_waitcnt vmcnt(1) lgkmcnt(0)
	v_pk_mul_f32 v[28:29], v[14:15], v[4:5] op_sel:[0,1]
	v_mov_b32_e32 v30, v7
	s_waitcnt vmcnt(0)
	v_pk_mul_f32 v[32:33], v[18:19], v[0:1] op_sel:[0,1]
	v_mov_b32_e32 v34, v3
	v_pk_fma_f32 v[40:41], v[14:15], v[4:5], v[28:29] op_sel:[0,0,1] op_sel_hi:[1,1,0] neg_lo:[0,0,1] neg_hi:[0,0,1]
	v_pk_fma_f32 v[14:15], v[14:15], v[4:5], v[28:29] op_sel:[0,0,1] op_sel_hi:[1,0,0]
	v_pk_mul_f32 v[28:29], v[16:17], v[30:31] op_sel_hi:[1,0]
	v_pk_fma_f32 v[30:31], v[18:19], v[0:1], v[32:33] op_sel:[0,0,1] op_sel_hi:[1,1,0] neg_lo:[0,0,1] neg_hi:[0,0,1]
	v_pk_fma_f32 v[18:19], v[18:19], v[0:1], v[32:33] op_sel:[0,0,1] op_sel_hi:[1,0,0]
	v_pk_mul_f32 v[32:33], v[24:25], v[34:35] op_sel_hi:[1,0]
	v_mov_b32_e32 v41, v15
	v_pk_fma_f32 v[14:15], v[16:17], v[6:7], v[28:29] op_sel:[0,0,1] op_sel_hi:[1,1,0] neg_lo:[0,0,1] neg_hi:[0,0,1]
	v_pk_fma_f32 v[16:17], v[16:17], v[6:7], v[28:29] op_sel:[0,0,1] op_sel_hi:[1,0,0]
	v_mov_b32_e32 v31, v19
	v_pk_fma_f32 v[18:19], v[24:25], v[2:3], v[32:33] op_sel:[0,0,1] op_sel_hi:[1,1,0] neg_lo:[0,0,1] neg_hi:[0,0,1]
	v_pk_fma_f32 v[24:25], v[24:25], v[2:3], v[32:33] op_sel:[0,0,1] op_sel_hi:[1,0,0]
	v_mov_b32_e32 v15, v17
	v_mov_b32_e32 v19, v25
	v_pk_add_f32 v[16:17], v[12:13], v[40:41]
	v_pk_add_f32 v[24:25], v[14:15], v[30:31]
	;; [unrolled: 1-line block ×3, first 2 shown]
	v_pk_add_f32 v[28:29], v[40:41], v[18:19] neg_lo:[0,1] neg_hi:[0,1]
	v_pk_add_f32 v[32:33], v[14:15], v[30:31] neg_lo:[0,1] neg_hi:[0,1]
	v_pk_add_f32 v[44:45], v[40:41], v[18:19]
	v_pk_add_f32 v[34:35], v[40:41], v[14:15] neg_lo:[0,1] neg_hi:[0,1]
	v_pk_add_f32 v[42:43], v[18:19], v[30:31] neg_lo:[0,1] neg_hi:[0,1]
	;; [unrolled: 1-line block ×4, first 2 shown]
	v_pk_add_f32 v[16:17], v[16:17], v[30:31]
	v_pk_fma_f32 v[24:25], v[24:25], 0.5, v[12:13] op_sel_hi:[1,0,1] neg_lo:[1,0,0] neg_hi:[1,0,0]
	v_pk_mul_f32 v[30:31], v[28:29], s[10:11] op_sel_hi:[1,0]
	v_pk_mul_f32 v[46:47], v[32:33], s[14:15] op_sel_hi:[1,0]
	v_pk_fma_f32 v[12:13], v[44:45], 0.5, v[12:13] op_sel_hi:[1,0,1] neg_lo:[1,0,0] neg_hi:[1,0,0]
	v_pk_mul_f32 v[32:33], v[32:33], s[10:11] op_sel_hi:[1,0]
	v_pk_mul_f32 v[28:29], v[28:29], s[14:15] op_sel_hi:[1,0]
	v_pk_add_f32 v[16:17], v[16:17], v[18:19]
	v_pk_add_f32 v[18:19], v[24:25], v[30:31] op_sel:[0,1] op_sel_hi:[1,0]
	v_pk_add_f32 v[24:25], v[24:25], v[30:31] op_sel:[0,1] op_sel_hi:[1,0] neg_lo:[0,1] neg_hi:[0,1]
	v_pk_add_f32 v[30:31], v[12:13], v[32:33] op_sel:[0,1] op_sel_hi:[1,0] neg_lo:[0,1] neg_hi:[0,1]
	v_pk_add_f32 v[12:13], v[12:13], v[32:33] op_sel:[0,1] op_sel_hi:[1,0]
	v_pk_add_f32 v[24:25], v[24:25], v[46:47] op_sel:[0,1] op_sel_hi:[1,0] neg_lo:[0,1] neg_hi:[0,1]
	v_pk_add_f32 v[18:19], v[18:19], v[46:47] op_sel:[0,1] op_sel_hi:[1,0]
	;; [unrolled: 2-line block ×3, first 2 shown]
	v_pk_add_f32 v[34:35], v[34:35], v[42:43]
	v_pk_add_f32 v[14:15], v[14:15], v[40:41]
	v_mov_b32_e32 v30, v18
	v_mov_b32_e32 v31, v25
	;; [unrolled: 1-line block ×6, first 2 shown]
	v_pk_fma_f32 v[18:19], v[34:35], s[6:7], v[30:31] op_sel_hi:[1,0,1]
	v_pk_fma_f32 v[28:29], v[14:15], s[6:7], v[32:33] op_sel_hi:[1,0,1]
	;; [unrolled: 1-line block ×4, first 2 shown]
	ds_write2_b64 v56, v[16:17], v[18:19] offset1:11
	ds_write2_b64 v56, v[28:29], v[12:13] offset0:22 offset1:33
	ds_write_b64 v56, v[14:15] offset:352
	s_waitcnt lgkmcnt(0)
	; wave barrier
	s_waitcnt lgkmcnt(0)
	global_load_dwordx4 v[16:19], v48, s[4:5] offset:352
	global_load_dwordx4 v[12:15], v48, s[4:5] offset:368
	ds_read2_b64 v[28:31], v37 offset1:55
	ds_read2_b64 v[32:35], v37 offset0:110 offset1:165
	ds_read_b64 v[24:25], v37 offset:1760
	s_waitcnt vmcnt(1) lgkmcnt(2)
	v_pk_mul_f32 v[40:41], v[30:31], v[16:17] op_sel:[0,1]
	v_mov_b32_e32 v42, v19
	s_waitcnt vmcnt(0) lgkmcnt(1)
	v_pk_mul_f32 v[44:45], v[34:35], v[12:13] op_sel:[0,1]
	v_mov_b32_e32 v46, v15
	v_pk_fma_f32 v[48:49], v[30:31], v[16:17], v[40:41] op_sel:[0,0,1] op_sel_hi:[1,1,0] neg_lo:[0,0,1] neg_hi:[0,0,1]
	v_pk_fma_f32 v[30:31], v[30:31], v[16:17], v[40:41] op_sel:[0,0,1] op_sel_hi:[1,0,0]
	v_pk_mul_f32 v[40:41], v[32:33], v[42:43] op_sel_hi:[1,0]
	v_pk_fma_f32 v[42:43], v[34:35], v[12:13], v[44:45] op_sel:[0,0,1] op_sel_hi:[1,1,0] neg_lo:[0,0,1] neg_hi:[0,0,1]
	v_pk_fma_f32 v[34:35], v[34:35], v[12:13], v[44:45] op_sel:[0,0,1] op_sel_hi:[1,0,0]
	s_waitcnt lgkmcnt(0)
	v_pk_mul_f32 v[44:45], v[24:25], v[46:47] op_sel_hi:[1,0]
	v_mov_b32_e32 v49, v31
	v_pk_fma_f32 v[30:31], v[32:33], v[18:19], v[40:41] op_sel:[0,0,1] op_sel_hi:[1,1,0] neg_lo:[0,0,1] neg_hi:[0,0,1]
	v_pk_fma_f32 v[32:33], v[32:33], v[18:19], v[40:41] op_sel:[0,0,1] op_sel_hi:[1,0,0]
	v_mov_b32_e32 v43, v35
	v_pk_fma_f32 v[34:35], v[24:25], v[14:15], v[44:45] op_sel:[0,0,1] op_sel_hi:[1,1,0] neg_lo:[0,0,1] neg_hi:[0,0,1]
	v_pk_fma_f32 v[24:25], v[24:25], v[14:15], v[44:45] op_sel:[0,0,1] op_sel_hi:[1,0,0]
	v_mov_b32_e32 v31, v33
	v_mov_b32_e32 v35, v25
	v_pk_add_f32 v[24:25], v[28:29], v[48:49]
	v_pk_add_f32 v[32:33], v[48:49], v[30:31] neg_lo:[0,1] neg_hi:[0,1]
	v_pk_add_f32 v[24:25], v[24:25], v[30:31]
	v_pk_add_f32 v[40:41], v[34:35], v[42:43] neg_lo:[0,1] neg_hi:[0,1]
	v_pk_add_f32 v[44:45], v[30:31], v[48:49] neg_lo:[0,1] neg_hi:[0,1]
	v_pk_add_f32 v[46:47], v[42:43], v[34:35] neg_lo:[0,1] neg_hi:[0,1]
	v_pk_add_f32 v[50:51], v[30:31], v[42:43]
	v_pk_add_f32 v[52:53], v[48:49], v[34:35] neg_lo:[0,1] neg_hi:[0,1]
	v_pk_add_f32 v[30:31], v[30:31], v[42:43] neg_lo:[0,1] neg_hi:[0,1]
	v_pk_add_f32 v[48:49], v[48:49], v[34:35]
	v_pk_add_f32 v[24:25], v[24:25], v[42:43]
	;; [unrolled: 1-line block ×4, first 2 shown]
	v_pk_fma_f32 v[40:41], v[50:51], 0.5, v[28:29] op_sel_hi:[1,0,1] neg_lo:[1,0,0] neg_hi:[1,0,0]
	v_pk_mul_f32 v[44:45], v[52:53], s[10:11] op_sel_hi:[1,0]
	v_pk_fma_f32 v[46:47], v[48:49], 0.5, v[28:29] op_sel_hi:[1,0,1] neg_lo:[1,0,0] neg_hi:[1,0,0]
	v_pk_mul_f32 v[48:49], v[30:31], s[10:11] op_sel_hi:[1,0]
	v_pk_mul_f32 v[30:31], v[30:31], s[14:15] op_sel_hi:[1,0]
	;; [unrolled: 1-line block ×3, first 2 shown]
	v_pk_add_f32 v[28:29], v[24:25], v[34:35]
	v_pk_add_f32 v[24:25], v[40:41], v[44:45] op_sel:[0,1] op_sel_hi:[1,0] neg_lo:[0,1] neg_hi:[0,1]
	v_pk_add_f32 v[34:35], v[40:41], v[44:45] op_sel:[0,1] op_sel_hi:[1,0]
	v_pk_add_f32 v[40:41], v[46:47], v[48:49] op_sel:[0,1] op_sel_hi:[1,0] neg_lo:[0,1] neg_hi:[0,1]
	v_pk_add_f32 v[44:45], v[48:49], v[46:47] op_sel:[1,0] op_sel_hi:[0,1]
	v_pk_add_f32 v[40:41], v[50:51], v[40:41] op_sel:[1,0] op_sel_hi:[0,1]
	v_pk_add_f32 v[44:45], v[44:45], v[50:51] op_sel:[0,1] op_sel_hi:[1,0] neg_lo:[0,1] neg_hi:[0,1]
	v_pk_add_f32 v[24:25], v[24:25], v[30:31] op_sel:[0,1] op_sel_hi:[1,0] neg_lo:[0,1] neg_hi:[0,1]
	v_pk_add_f32 v[30:31], v[34:35], v[30:31] op_sel:[0,1] op_sel_hi:[1,0]
	v_mov_b32_e32 v34, v44
	v_mov_b32_e32 v35, v41
	;; [unrolled: 1-line block ×6, first 2 shown]
	v_pk_fma_f32 v[30:31], v[32:33], s[6:7], v[46:47] op_sel_hi:[1,0,1]
	v_pk_fma_f32 v[24:25], v[32:33], s[6:7], v[24:25] op_sel_hi:[1,0,1]
	v_pk_fma_f32 v[32:33], v[42:43], s[6:7], v[40:41] op_sel_hi:[1,0,1]
	v_pk_fma_f32 v[34:35], v[42:43], s[6:7], v[34:35] op_sel_hi:[1,0,1]
	ds_write2_b64 v37, v[28:29], v[30:31] offset1:55
	ds_write2_b64 v37, v[32:33], v[34:35] offset0:110 offset1:165
	ds_write_b64 v37, v[24:25] offset:1760
	s_waitcnt lgkmcnt(0)
	; wave barrier
	s_waitcnt lgkmcnt(0)
	s_and_saveexec_b64 s[4:5], vcc
	s_cbranch_execz .LBB0_9
; %bb.8:
	global_load_dwordx2 v[40:41], v37, s[8:9] offset:2200
	s_add_u32 s6, s8, 0x898
	s_addc_u32 s7, s9, 0
	global_load_dwordx2 v[58:59], v37, s[6:7] offset:200
	global_load_dwordx2 v[66:67], v37, s[6:7] offset:400
	;; [unrolled: 1-line block ×10, first 2 shown]
	ds_read_b64 v[42:43], v37
	s_waitcnt vmcnt(10) lgkmcnt(0)
	v_mul_f32_e32 v44, v43, v41
	v_mul_f32_e32 v45, v42, v41
	v_fma_f32 v44, v42, v40, -v44
	v_fmac_f32_e32 v45, v43, v40
	ds_write_b64 v37, v[44:45]
	ds_read2_b64 v[40:43], v37 offset0:25 offset1:50
	ds_read2_b64 v[44:47], v37 offset0:75 offset1:100
	;; [unrolled: 1-line block ×5, first 2 shown]
	s_waitcnt vmcnt(9) lgkmcnt(4)
	v_mul_f32_e32 v57, v41, v59
	v_mul_f32_e32 v85, v40, v59
	s_waitcnt vmcnt(8)
	v_mul_f32_e32 v61, v43, v67
	v_mul_f32_e32 v59, v42, v67
	s_waitcnt vmcnt(7) lgkmcnt(3)
	v_mul_f32_e32 v86, v45, v69
	v_mul_f32_e32 v67, v44, v69
	s_waitcnt vmcnt(6)
	v_mul_f32_e32 v87, v47, v71
	v_mul_f32_e32 v69, v46, v71
	s_waitcnt vmcnt(5) lgkmcnt(2)
	v_mul_f32_e32 v88, v49, v73
	v_mul_f32_e32 v71, v48, v73
	s_waitcnt vmcnt(4)
	v_mul_f32_e32 v89, v51, v75
	v_mul_f32_e32 v73, v50, v75
	s_waitcnt vmcnt(3) lgkmcnt(1)
	v_mul_f32_e32 v90, v53, v77
	v_mul_f32_e32 v75, v52, v77
	s_waitcnt vmcnt(2)
	v_mul_f32_e32 v91, v55, v79
	v_mul_f32_e32 v77, v54, v79
	s_waitcnt vmcnt(1) lgkmcnt(0)
	v_mul_f32_e32 v92, v63, v81
	v_mul_f32_e32 v79, v62, v81
	s_waitcnt vmcnt(0)
	v_mul_f32_e32 v93, v65, v83
	v_mul_f32_e32 v81, v64, v83
	v_fma_f32 v84, v40, v58, -v57
	v_fmac_f32_e32 v85, v41, v58
	v_fma_f32 v58, v42, v66, -v61
	v_fmac_f32_e32 v59, v43, v66
	;; [unrolled: 2-line block ×10, first 2 shown]
	ds_write2_b64 v37, v[84:85], v[58:59] offset0:25 offset1:50
	ds_write2_b64 v37, v[66:67], v[68:69] offset0:75 offset1:100
	;; [unrolled: 1-line block ×5, first 2 shown]
.LBB0_9:
	s_or_b64 exec, exec, s[4:5]
	s_waitcnt lgkmcnt(0)
	; wave barrier
	s_waitcnt lgkmcnt(0)
	s_and_saveexec_b64 s[4:5], vcc
	s_cbranch_execz .LBB0_11
; %bb.10:
	ds_read2_b64 v[28:31], v37 offset1:25
	ds_read2_b64 v[32:35], v37 offset0:50 offset1:75
	ds_read2_b64 v[24:27], v37 offset0:100 offset1:125
	;; [unrolled: 1-line block ×4, first 2 shown]
	ds_read_b64 v[38:39], v37 offset:2000
.LBB0_11:
	s_or_b64 exec, exec, s[4:5]
	v_mov_b32_e32 v54, v4
	v_mov_b32_e32 v55, v4
	v_mov_b32_e32 v4, v5
	v_mov_b32_e32 v52, v6
	v_mov_b32_e32 v53, v6
	v_mov_b32_e32 v6, v7
	v_mov_b32_e32 v50, v0
	v_mov_b32_e32 v51, v0
	v_mov_b32_e32 v0, v1
	v_mov_b32_e32 v48, v2
	v_mov_b32_e32 v49, v2
	v_mov_b32_e32 v2, v3
	v_mov_b32_e32 v46, v16
	v_mov_b32_e32 v47, v16
	v_mov_b32_e32 v16, v17
	v_mov_b32_e32 v44, v18
	v_mov_b32_e32 v45, v18
	v_mov_b32_e32 v18, v19
	v_mov_b32_e32 v42, v12
	v_mov_b32_e32 v43, v12
	v_mov_b32_e32 v12, v13
	v_mov_b32_e32 v40, v14
	v_mov_b32_e32 v41, v14
	v_mov_b32_e32 v14, v15
	s_waitcnt lgkmcnt(0)
	; wave barrier
	s_waitcnt lgkmcnt(0)
	s_and_saveexec_b64 s[4:5], vcc
	s_cbranch_execz .LBB0_13
; %bb.12:
	v_pk_add_f32 v[58:59], v[30:31], v[28:29]
	v_lshlrev_b32_e32 v57, 3, v60
	v_pk_add_f32 v[58:59], v[32:33], v[58:59]
	v_pk_add_f32 v[60:61], v[38:39], v[30:31]
	;; [unrolled: 1-line block ×3, first 2 shown]
	v_pk_add_f32 v[30:31], v[30:31], v[38:39] neg_lo:[0,1] neg_hi:[0,1]
	v_pk_add_f32 v[58:59], v[24:25], v[58:59]
	s_mov_b32 s22, 0xbf0a6770
	v_pk_add_f32 v[58:59], v[26:27], v[58:59]
	s_mov_b32 s10, 0x3f575c64
	v_pk_add_f32 v[58:59], v[20:21], v[58:59]
	v_pk_add_f32 v[62:63], v[8:9], v[34:35]
	;; [unrolled: 1-line block ×3, first 2 shown]
	v_pk_add_f32 v[34:35], v[34:35], v[8:9] neg_lo:[0,1] neg_hi:[0,1]
	v_pk_add_f32 v[58:59], v[8:9], v[58:59]
	s_mov_b32 s28, 0xbf68dda4
	v_pk_add_f32 v[58:59], v[10:11], v[58:59]
	v_pk_add_f32 v[64:65], v[22:23], v[24:25]
	;; [unrolled: 1-line block ×4, first 2 shown]
	v_pk_add_f32 v[32:33], v[32:33], v[10:11] neg_lo:[0,1] neg_hi:[0,1]
	v_pk_mul_f32 v[10:11], v[30:31], s[22:23] op_sel_hi:[1,0]
	v_pk_add_f32 v[66:67], v[24:25], v[22:23] neg_lo:[0,1] neg_hi:[0,1]
	v_pk_fma_f32 v[8:9], v[60:61], s[10:11], v[10:11] op_sel:[0,0,1] op_sel_hi:[1,0,0]
	v_pk_fma_f32 v[10:11], v[60:61], s[10:11], v[10:11] op_sel:[0,0,1] op_sel_hi:[1,0,0] neg_lo:[0,0,1] neg_hi:[0,0,1]
	v_pk_add_f32 v[68:69], v[20:21], v[26:27]
	v_pk_add_f32 v[70:71], v[26:27], v[20:21] neg_lo:[0,1] neg_hi:[0,1]
	v_mov_b32_e32 v20, v8
	v_mov_b32_e32 v21, v11
	s_mov_b32 s6, 0x3ed4b147
	v_pk_mul_f32 v[22:23], v[32:33], s[28:29] op_sel_hi:[1,0]
	v_pk_add_f32 v[24:25], v[28:29], v[20:21]
	v_pk_fma_f32 v[20:21], v[38:39], s[6:7], v[22:23] op_sel:[0,0,1] op_sel_hi:[1,0,0]
	v_pk_fma_f32 v[22:23], v[38:39], s[6:7], v[22:23] op_sel:[0,0,1] op_sel_hi:[1,0,0] neg_lo:[0,0,1] neg_hi:[0,0,1]
	v_mov_b32_e32 v26, v20
	v_mov_b32_e32 v27, v23
	s_mov_b32 s16, 0xbf7d64f0
	v_pk_add_f32 v[72:73], v[26:27], v[24:25]
	s_mov_b32 s14, 0xbe11bafb
	v_pk_mul_f32 v[26:27], v[34:35], s[16:17] op_sel_hi:[1,0]
	s_mov_b32 s20, 0xbf4178ce
	v_pk_fma_f32 v[24:25], v[62:63], s[14:15], v[26:27] op_sel:[0,0,1] op_sel_hi:[1,0,0]
	v_pk_fma_f32 v[26:27], v[62:63], s[14:15], v[26:27] op_sel:[0,0,1] op_sel_hi:[1,0,0] neg_lo:[0,0,1] neg_hi:[0,0,1]
	v_mov_b32_e32 v74, v24
	v_mov_b32_e32 v75, v27
	v_pk_add_f32 v[72:73], v[74:75], v[72:73]
	s_mov_b32 s18, 0xbf27a4f4
	v_pk_mul_f32 v[74:75], v[66:67], s[20:21] op_sel_hi:[1,0]
	s_mov_b32 s26, 0xbe903f40
	v_pk_fma_f32 v[76:77], v[64:65], s[18:19], v[74:75] op_sel:[0,0,1] op_sel_hi:[1,0,0]
	v_pk_fma_f32 v[74:75], v[64:65], s[18:19], v[74:75] op_sel:[0,0,1] op_sel_hi:[1,0,0] neg_lo:[0,0,1] neg_hi:[0,0,1]
	v_mov_b32_e32 v78, v76
	v_mov_b32_e32 v79, v75
	v_pk_add_f32 v[72:73], v[78:79], v[72:73]
	s_mov_b32 s24, 0xbf75a155
	v_pk_mul_f32 v[78:79], v[70:71], s[26:27] op_sel_hi:[1,0]
	v_pk_mul_f32 v[84:85], v[32:33], s[20:21] op_sel_hi:[1,0]
	v_pk_fma_f32 v[80:81], v[68:69], s[24:25], v[78:79] op_sel:[0,0,1] op_sel_hi:[1,0,0]
	v_pk_fma_f32 v[78:79], v[68:69], s[24:25], v[78:79] op_sel:[0,0,1] op_sel_hi:[1,0,0] neg_lo:[0,0,1] neg_hi:[0,0,1]
	v_mov_b32_e32 v82, v80
	v_mov_b32_e32 v83, v79
	v_pk_add_f32 v[72:73], v[82:83], v[72:73]
	ds_write2_b64 v57, v[58:59], v[72:73] offset1:1
	v_pk_mul_f32 v[58:59], v[30:31], s[28:29] op_sel_hi:[1,0]
	v_pk_fma_f32 v[86:87], v[38:39], s[18:19], v[84:85] op_sel:[0,0,1] op_sel_hi:[1,0,0]
	v_pk_fma_f32 v[72:73], v[60:61], s[6:7], v[58:59] op_sel:[0,0,1] op_sel_hi:[1,0,0]
	v_pk_fma_f32 v[58:59], v[60:61], s[6:7], v[58:59] op_sel:[0,0,1] op_sel_hi:[1,0,0] neg_lo:[0,0,1] neg_hi:[0,0,1]
	v_mov_b32_e32 v82, v72
	v_mov_b32_e32 v83, v59
	v_pk_fma_f32 v[84:85], v[38:39], s[18:19], v[84:85] op_sel:[0,0,1] op_sel_hi:[1,0,0] neg_lo:[0,0,1] neg_hi:[0,0,1]
	v_pk_add_f32 v[82:83], v[28:29], v[82:83]
	v_mov_b32_e32 v88, v86
	v_mov_b32_e32 v89, v85
	s_mov_b32 s28, 0x3e903f40
	v_pk_add_f32 v[82:83], v[88:89], v[82:83]
	v_pk_mul_f32 v[88:89], v[34:35], s[28:29] op_sel_hi:[1,0]
	s_mov_b32 s30, 0x3f7d64f0
	v_pk_fma_f32 v[90:91], v[62:63], s[24:25], v[88:89] op_sel:[0,0,1] op_sel_hi:[1,0,0]
	v_pk_fma_f32 v[88:89], v[62:63], s[24:25], v[88:89] op_sel:[0,0,1] op_sel_hi:[1,0,0] neg_lo:[0,0,1] neg_hi:[0,0,1]
	v_mov_b32_e32 v92, v90
	v_mov_b32_e32 v93, v89
	v_pk_add_f32 v[82:83], v[92:93], v[82:83]
	v_pk_mul_f32 v[92:93], v[66:67], s[30:31] op_sel_hi:[1,0]
	s_mov_b32 s34, 0x3f0a6770
	v_pk_fma_f32 v[94:95], v[64:65], s[14:15], v[92:93] op_sel:[0,0,1] op_sel_hi:[1,0,0]
	v_pk_fma_f32 v[92:93], v[64:65], s[14:15], v[92:93] op_sel:[0,0,1] op_sel_hi:[1,0,0] neg_lo:[0,0,1] neg_hi:[0,0,1]
	v_mov_b32_e32 v96, v94
	v_mov_b32_e32 v97, v93
	v_pk_add_f32 v[82:83], v[96:97], v[82:83]
	v_pk_mul_f32 v[96:97], v[70:71], s[34:35] op_sel_hi:[1,0]
	v_pk_mul_f32 v[106:107], v[32:33], s[28:29] op_sel_hi:[1,0]
	v_pk_fma_f32 v[98:99], v[68:69], s[10:11], v[96:97] op_sel:[0,0,1] op_sel_hi:[1,0,0]
	v_pk_fma_f32 v[96:97], v[68:69], s[10:11], v[96:97] op_sel:[0,0,1] op_sel_hi:[1,0,0] neg_lo:[0,0,1] neg_hi:[0,0,1]
	v_mov_b32_e32 v100, v98
	v_mov_b32_e32 v101, v97
	v_pk_add_f32 v[82:83], v[100:101], v[82:83]
	v_pk_mul_f32 v[100:101], v[30:31], s[16:17] op_sel_hi:[1,0]
	v_pk_fma_f32 v[108:109], v[38:39], s[24:25], v[106:107] op_sel:[0,0,1] op_sel_hi:[1,0,0]
	v_pk_fma_f32 v[102:103], v[60:61], s[14:15], v[100:101] op_sel:[0,0,1] op_sel_hi:[1,0,0]
	v_pk_fma_f32 v[100:101], v[60:61], s[14:15], v[100:101] op_sel:[0,0,1] op_sel_hi:[1,0,0] neg_lo:[0,0,1] neg_hi:[0,0,1]
	v_mov_b32_e32 v104, v102
	v_mov_b32_e32 v105, v101
	v_pk_fma_f32 v[106:107], v[38:39], s[24:25], v[106:107] op_sel:[0,0,1] op_sel_hi:[1,0,0] neg_lo:[0,0,1] neg_hi:[0,0,1]
	v_pk_add_f32 v[104:105], v[28:29], v[104:105]
	v_mov_b32_e32 v110, v108
	v_mov_b32_e32 v111, v107
	s_mov_b32 s28, 0x3f68dda4
	v_pk_add_f32 v[104:105], v[110:111], v[104:105]
	v_pk_mul_f32 v[110:111], v[34:35], s[28:29] op_sel_hi:[1,0]
	v_pk_mul_f32 v[126:127], v[32:33], s[30:31] op_sel_hi:[1,0]
	v_pk_fma_f32 v[112:113], v[62:63], s[6:7], v[110:111] op_sel:[0,0,1] op_sel_hi:[1,0,0]
	v_pk_fma_f32 v[110:111], v[62:63], s[6:7], v[110:111] op_sel:[0,0,1] op_sel_hi:[1,0,0] neg_lo:[0,0,1] neg_hi:[0,0,1]
	v_mov_b32_e32 v114, v112
	v_mov_b32_e32 v115, v111
	v_pk_add_f32 v[104:105], v[114:115], v[104:105]
	v_pk_mul_f32 v[114:115], v[66:67], s[22:23] op_sel_hi:[1,0]
	v_pk_fma_f32 v[128:129], v[38:39], s[14:15], v[126:127] op_sel:[0,0,1] op_sel_hi:[1,0,0]
	v_pk_fma_f32 v[118:119], v[64:65], s[10:11], v[114:115] op_sel:[0,0,1] op_sel_hi:[1,0,0]
	v_pk_fma_f32 v[114:115], v[64:65], s[10:11], v[114:115] op_sel:[0,0,1] op_sel_hi:[1,0,0] neg_lo:[0,0,1] neg_hi:[0,0,1]
	v_mov_b32_e32 v120, v118
	v_mov_b32_e32 v121, v115
	v_pk_add_f32 v[104:105], v[120:121], v[104:105]
	v_pk_mul_f32 v[120:121], v[70:71], s[20:21] op_sel_hi:[1,0]
	v_pk_fma_f32 v[126:127], v[38:39], s[14:15], v[126:127] op_sel:[0,0,1] op_sel_hi:[1,0,0] neg_lo:[0,0,1] neg_hi:[0,0,1]
	v_pk_fma_f32 v[122:123], v[68:69], s[18:19], v[120:121] op_sel:[0,0,1] op_sel_hi:[1,0,0]
	v_pk_fma_f32 v[120:121], v[68:69], s[18:19], v[120:121] op_sel:[0,0,1] op_sel_hi:[1,0,0] neg_lo:[0,0,1] neg_hi:[0,0,1]
	v_mov_b32_e32 v124, v122
	v_mov_b32_e32 v125, v121
	v_pk_add_f32 v[104:105], v[124:125], v[104:105]
	ds_write2_b64 v57, v[82:83], v[104:105] offset0:2 offset1:3
	v_pk_mul_f32 v[82:83], v[30:31], s[20:21] op_sel_hi:[1,0]
	v_mov_b32_e32 v130, v128
	v_pk_fma_f32 v[104:105], v[60:61], s[18:19], v[82:83] op_sel:[0,0,1] op_sel_hi:[1,0,0]
	v_pk_fma_f32 v[82:83], v[60:61], s[18:19], v[82:83] op_sel:[0,0,1] op_sel_hi:[1,0,0] neg_lo:[0,0,1] neg_hi:[0,0,1]
	v_mov_b32_e32 v124, v104
	v_mov_b32_e32 v125, v83
	v_pk_add_f32 v[124:125], v[28:29], v[124:125]
	v_mov_b32_e32 v131, v127
	v_pk_add_f32 v[124:125], v[130:131], v[124:125]
	v_pk_mul_f32 v[130:131], v[34:35], s[22:23] op_sel_hi:[1,0]
	v_pk_mul_f32 v[30:31], v[30:31], s[26:27] op_sel_hi:[1,0]
	v_pk_fma_f32 v[132:133], v[62:63], s[10:11], v[130:131] op_sel:[0,0,1] op_sel_hi:[1,0,0]
	v_pk_fma_f32 v[130:131], v[62:63], s[10:11], v[130:131] op_sel:[0,0,1] op_sel_hi:[1,0,0] neg_lo:[0,0,1] neg_hi:[0,0,1]
	v_mov_b32_e32 v134, v132
	v_mov_b32_e32 v135, v131
	v_pk_add_f32 v[124:125], v[134:135], v[124:125]
	v_pk_mul_f32 v[134:135], v[66:67], s[26:27] op_sel_hi:[1,0]
	v_pk_mul_f32 v[32:33], v[32:33], s[34:35] op_sel_hi:[1,0]
	v_pk_fma_f32 v[136:137], v[64:65], s[24:25], v[134:135] op_sel:[0,0,1] op_sel_hi:[1,0,0]
	v_pk_fma_f32 v[134:135], v[64:65], s[24:25], v[134:135] op_sel:[0,0,1] op_sel_hi:[1,0,0] neg_lo:[0,0,1] neg_hi:[0,0,1]
	v_mov_b32_e32 v138, v136
	v_mov_b32_e32 v139, v135
	v_pk_add_f32 v[124:125], v[138:139], v[124:125]
	v_pk_mul_f32 v[138:139], v[70:71], s[28:29] op_sel_hi:[1,0]
	v_pk_fma_f32 v[144:145], v[38:39], s[10:11], v[32:33] op_sel:[0,0,1] op_sel_hi:[1,0,0]
	v_pk_fma_f32 v[140:141], v[68:69], s[6:7], v[138:139] op_sel:[0,0,1] op_sel_hi:[1,0,0]
	v_pk_fma_f32 v[138:139], v[68:69], s[6:7], v[138:139] op_sel:[0,0,1] op_sel_hi:[1,0,0] neg_lo:[0,0,1] neg_hi:[0,0,1]
	v_mov_b32_e32 v142, v140
	v_mov_b32_e32 v143, v139
	v_pk_add_f32 v[124:125], v[142:143], v[124:125]
	v_pk_fma_f32 v[142:143], v[60:61], s[24:25], v[30:31] op_sel:[0,0,1] op_sel_hi:[1,0,0]
	v_pk_fma_f32 v[30:31], v[60:61], s[24:25], v[30:31] op_sel:[0,0,1] op_sel_hi:[1,0,0] neg_lo:[0,0,1] neg_hi:[0,0,1]
	v_mov_b32_e32 v60, v142
	v_mov_b32_e32 v61, v31
	v_pk_fma_f32 v[32:33], v[38:39], s[10:11], v[32:33] op_sel:[0,0,1] op_sel_hi:[1,0,0] neg_lo:[0,0,1] neg_hi:[0,0,1]
	v_pk_add_f32 v[60:61], v[28:29], v[60:61]
	v_mov_b32_e32 v38, v144
	v_mov_b32_e32 v39, v33
	v_pk_mul_f32 v[34:35], v[34:35], s[20:21] op_sel_hi:[1,0]
	v_pk_add_f32 v[38:39], v[38:39], v[60:61]
	v_pk_fma_f32 v[60:61], v[62:63], s[18:19], v[34:35] op_sel:[0,0,1] op_sel_hi:[1,0,0]
	v_pk_fma_f32 v[34:35], v[62:63], s[18:19], v[34:35] op_sel:[0,0,1] op_sel_hi:[1,0,0] neg_lo:[0,0,1] neg_hi:[0,0,1]
	v_mov_b32_e32 v62, v60
	v_mov_b32_e32 v63, v35
	v_pk_add_f32 v[38:39], v[62:63], v[38:39]
	v_pk_mul_f32 v[62:63], v[66:67], s[28:29] op_sel_hi:[1,0]
	v_mov_b32_e32 v31, v143
	v_pk_fma_f32 v[66:67], v[64:65], s[6:7], v[62:63] op_sel:[0,0,1] op_sel_hi:[1,0,0]
	v_pk_fma_f32 v[62:63], v[64:65], s[6:7], v[62:63] op_sel:[0,0,1] op_sel_hi:[1,0,0] neg_lo:[0,0,1] neg_hi:[0,0,1]
	v_pk_add_f32 v[30:31], v[28:29], v[30:31]
	v_mov_b32_e32 v33, v145
	v_mov_b32_e32 v83, v105
	;; [unrolled: 1-line block ×4, first 2 shown]
	v_pk_add_f32 v[30:31], v[32:33], v[30:31]
	v_pk_add_f32 v[32:33], v[28:29], v[82:83]
	v_mov_b32_e32 v127, v129
	v_pk_add_f32 v[38:39], v[64:65], v[38:39]
	v_pk_mul_f32 v[64:65], v[70:71], s[16:17] op_sel_hi:[1,0]
	v_mov_b32_e32 v35, v61
	v_pk_add_f32 v[32:33], v[126:127], v[32:33]
	v_mov_b32_e32 v131, v133
	v_pk_fma_f32 v[70:71], v[68:69], s[14:15], v[64:65] op_sel:[0,0,1] op_sel_hi:[1,0,0]
	v_pk_fma_f32 v[64:65], v[68:69], s[14:15], v[64:65] op_sel:[0,0,1] op_sel_hi:[1,0,0] neg_lo:[0,0,1] neg_hi:[0,0,1]
	v_pk_add_f32 v[30:31], v[34:35], v[30:31]
	v_mov_b32_e32 v63, v67
	v_pk_add_f32 v[32:33], v[130:131], v[32:33]
	v_mov_b32_e32 v135, v137
	v_mov_b32_e32 v69, v65
	v_pk_add_f32 v[30:31], v[62:63], v[30:31]
	v_mov_b32_e32 v65, v71
	v_pk_add_f32 v[32:33], v[134:135], v[32:33]
	;; [unrolled: 2-line block ×3, first 2 shown]
	v_pk_add_f32 v[32:33], v[138:139], v[32:33]
	v_mov_b32_e32 v101, v103
	v_mov_b32_e32 v59, v73
	v_mov_b32_e32 v11, v9
	ds_write2_b64 v57, v[30:31], v[32:33] offset0:6 offset1:7
	v_pk_add_f32 v[30:31], v[28:29], v[100:101]
	v_mov_b32_e32 v107, v109
	v_pk_add_f32 v[32:33], v[28:29], v[58:59]
	v_mov_b32_e32 v85, v87
	;; [unrolled: 2-line block ×9, first 2 shown]
	v_mov_b32_e32 v68, v70
	v_pk_add_f32 v[30:31], v[114:115], v[30:31]
	v_mov_b32_e32 v121, v123
	v_pk_add_f32 v[32:33], v[92:93], v[32:33]
	;; [unrolled: 2-line block ×4, first 2 shown]
	v_pk_add_f32 v[30:31], v[120:121], v[30:31]
	v_pk_add_f32 v[32:33], v[96:97], v[32:33]
	;; [unrolled: 1-line block ×3, first 2 shown]
	ds_write2_b64 v57, v[124:125], v[38:39] offset0:4 offset1:5
	ds_write2_b64 v57, v[30:31], v[32:33] offset0:8 offset1:9
	ds_write_b64 v57, v[8:9] offset:80
.LBB0_13:
	s_or_b64 exec, exec, s[4:5]
	s_waitcnt lgkmcnt(0)
	; wave barrier
	s_waitcnt lgkmcnt(0)
	ds_read2_b64 v[8:11], v37 offset1:55
	ds_read2_b64 v[20:23], v37 offset0:110 offset1:165
	ds_read_b64 v[24:25], v37 offset:1760
	s_mov_b32 s6, 0x3f737871
	s_mov_b32 s10, 0x3f167918
	s_waitcnt lgkmcnt(2)
	v_pk_mul_f32 v[4:5], v[4:5], v[10:11]
	s_waitcnt lgkmcnt(1)
	v_pk_mul_f32 v[0:1], v[0:1], v[22:23]
	v_pk_fma_f32 v[26:27], v[54:55], v[10:11], v[4:5] op_sel:[0,0,1] op_sel_hi:[1,1,0]
	v_pk_fma_f32 v[4:5], v[54:55], v[10:11], v[4:5] op_sel:[0,0,1] op_sel_hi:[1,1,0] neg_lo:[0,0,1] neg_hi:[0,0,1]
	s_mov_b32 s4, 0x3e9e377a
	v_mov_b32_e32 v27, v5
	v_pk_mul_f32 v[4:5], v[6:7], v[20:21]
	s_waitcnt lgkmcnt(0)
	v_pk_fma_f32 v[6:7], v[52:53], v[20:21], v[4:5] op_sel:[0,0,1] op_sel_hi:[1,1,0]
	v_pk_fma_f32 v[4:5], v[52:53], v[20:21], v[4:5] op_sel:[0,0,1] op_sel_hi:[1,1,0] neg_lo:[0,0,1] neg_hi:[0,0,1]
	; wave barrier
	s_nop 0
	v_mov_b32_e32 v7, v5
	v_pk_fma_f32 v[4:5], v[50:51], v[22:23], v[0:1] op_sel:[0,0,1] op_sel_hi:[1,1,0]
	v_pk_fma_f32 v[0:1], v[50:51], v[22:23], v[0:1] op_sel:[0,0,1] op_sel_hi:[1,1,0] neg_lo:[0,0,1] neg_hi:[0,0,1]
	v_pk_add_f32 v[30:31], v[26:27], v[6:7] neg_lo:[0,1] neg_hi:[0,1]
	v_mov_b32_e32 v5, v1
	v_pk_mul_f32 v[0:1], v[2:3], v[24:25]
	v_pk_add_f32 v[10:11], v[6:7], v[4:5]
	v_pk_fma_f32 v[2:3], v[48:49], v[24:25], v[0:1] op_sel:[0,0,1] op_sel_hi:[1,1,0]
	v_pk_fma_f32 v[0:1], v[48:49], v[24:25], v[0:1] op_sel:[0,0,1] op_sel_hi:[1,1,0] neg_lo:[0,0,1] neg_hi:[0,0,1]
	v_pk_fma_f32 v[10:11], v[10:11], 0.5, v[8:9] op_sel_hi:[1,0,1] neg_lo:[1,0,0] neg_hi:[1,0,0]
	v_mov_b32_e32 v3, v1
	v_pk_add_f32 v[20:21], v[26:27], v[2:3] neg_lo:[0,1] neg_hi:[0,1]
	v_pk_add_f32 v[24:25], v[6:7], v[4:5] neg_lo:[0,1] neg_hi:[0,1]
	v_pk_mul_f32 v[22:23], v[20:21], s[6:7] op_sel_hi:[1,0]
	v_pk_add_f32 v[32:33], v[2:3], v[4:5] neg_lo:[0,1] neg_hi:[0,1]
	v_pk_add_f32 v[0:1], v[8:9], v[26:27]
	v_pk_mul_f32 v[28:29], v[24:25], s[10:11] op_sel_hi:[1,0]
	v_pk_add_f32 v[30:31], v[30:31], v[32:33]
	v_pk_add_f32 v[32:33], v[10:11], v[22:23] op_sel:[0,1] op_sel_hi:[1,0] neg_lo:[0,1] neg_hi:[0,1]
	v_pk_add_f32 v[10:11], v[10:11], v[22:23] op_sel:[0,1] op_sel_hi:[1,0]
	v_pk_add_f32 v[0:1], v[0:1], v[6:7]
	v_pk_add_f32 v[10:11], v[10:11], v[28:29] op_sel:[0,1] op_sel_hi:[1,0]
	v_pk_add_f32 v[22:23], v[32:33], v[28:29] op_sel:[0,1] op_sel_hi:[1,0] neg_lo:[0,1] neg_hi:[0,1]
	v_pk_add_f32 v[0:1], v[0:1], v[4:5]
	v_mov_b32_e32 v28, v22
	v_mov_b32_e32 v29, v11
	v_pk_add_f32 v[0:1], v[0:1], v[2:3]
	v_pk_fma_f32 v[28:29], v[30:31], s[4:5], v[28:29] op_sel_hi:[1,0,1]
	ds_write2_b64 v56, v[0:1], v[28:29] offset1:11
	v_pk_add_f32 v[0:1], v[26:27], v[2:3]
	v_pk_add_f32 v[6:7], v[6:7], v[26:27] neg_lo:[0,1] neg_hi:[0,1]
	v_pk_fma_f32 v[0:1], v[0:1], 0.5, v[8:9] op_sel_hi:[1,0,1] neg_lo:[1,0,0] neg_hi:[1,0,0]
	v_pk_add_f32 v[2:3], v[4:5], v[2:3] neg_lo:[0,1] neg_hi:[0,1]
	v_pk_mul_f32 v[4:5], v[24:25], s[6:7] op_sel_hi:[1,0]
	v_pk_add_f32 v[2:3], v[6:7], v[2:3]
	v_pk_mul_f32 v[6:7], v[20:21], s[10:11] op_sel_hi:[1,0]
	v_pk_add_f32 v[8:9], v[0:1], v[4:5] op_sel:[0,1] op_sel_hi:[1,0]
	v_pk_add_f32 v[0:1], v[0:1], v[4:5] op_sel:[0,1] op_sel_hi:[1,0] neg_lo:[0,1] neg_hi:[0,1]
	v_pk_add_f32 v[4:5], v[8:9], v[6:7] op_sel:[0,1] op_sel_hi:[1,0] neg_lo:[0,1] neg_hi:[0,1]
	v_pk_add_f32 v[0:1], v[0:1], v[6:7] op_sel:[0,1] op_sel_hi:[1,0]
	v_mov_b32_e32 v6, v4
	v_mov_b32_e32 v7, v1
	;; [unrolled: 1-line block ×3, first 2 shown]
	v_pk_fma_f32 v[6:7], v[2:3], s[4:5], v[6:7] op_sel_hi:[1,0,1]
	v_pk_fma_f32 v[0:1], v[2:3], s[4:5], v[0:1] op_sel_hi:[1,0,1]
	v_mov_b32_e32 v11, v23
	ds_write2_b64 v56, v[6:7], v[0:1] offset0:22 offset1:33
	v_pk_fma_f32 v[0:1], v[30:31], s[4:5], v[10:11] op_sel_hi:[1,0,1]
	ds_write_b64 v56, v[0:1] offset:352
	s_waitcnt lgkmcnt(0)
	; wave barrier
	s_waitcnt lgkmcnt(0)
	ds_read2_b64 v[0:3], v37 offset1:55
	ds_read2_b64 v[4:7], v37 offset0:110 offset1:165
	ds_read_b64 v[8:9], v37 offset:1760
	s_waitcnt lgkmcnt(2)
	v_pk_mul_f32 v[10:11], v[16:17], v[2:3]
	s_nop 0
	v_pk_fma_f32 v[16:17], v[46:47], v[2:3], v[10:11] op_sel:[0,0,1] op_sel_hi:[1,1,0]
	v_pk_fma_f32 v[2:3], v[46:47], v[2:3], v[10:11] op_sel:[0,0,1] op_sel_hi:[1,1,0] neg_lo:[0,0,1] neg_hi:[0,0,1]
	s_nop 0
	v_mov_b32_e32 v17, v3
	s_waitcnt lgkmcnt(1)
	v_pk_mul_f32 v[2:3], v[18:19], v[4:5]
	s_nop 0
	v_pk_fma_f32 v[10:11], v[44:45], v[4:5], v[2:3] op_sel:[0,0,1] op_sel_hi:[1,1,0]
	v_pk_fma_f32 v[2:3], v[44:45], v[4:5], v[2:3] op_sel:[0,0,1] op_sel_hi:[1,1,0] neg_lo:[0,0,1] neg_hi:[0,0,1]
	s_nop 0
	v_mov_b32_e32 v11, v3
	v_pk_mul_f32 v[2:3], v[12:13], v[6:7]
	v_pk_add_f32 v[22:23], v[16:17], v[10:11] neg_lo:[0,1] neg_hi:[0,1]
	v_pk_fma_f32 v[4:5], v[42:43], v[6:7], v[2:3] op_sel:[0,0,1] op_sel_hi:[1,1,0]
	v_pk_fma_f32 v[2:3], v[42:43], v[6:7], v[2:3] op_sel:[0,0,1] op_sel_hi:[1,1,0] neg_lo:[0,0,1] neg_hi:[0,0,1]
	s_nop 0
	v_mov_b32_e32 v5, v3
	s_waitcnt lgkmcnt(0)
	v_pk_mul_f32 v[2:3], v[14:15], v[8:9]
	v_pk_add_f32 v[18:19], v[10:11], v[4:5] neg_lo:[0,1] neg_hi:[0,1]
	v_pk_fma_f32 v[6:7], v[40:41], v[8:9], v[2:3] op_sel:[0,0,1] op_sel_hi:[1,1,0]
	v_pk_fma_f32 v[2:3], v[40:41], v[8:9], v[2:3] op_sel:[0,0,1] op_sel_hi:[1,1,0] neg_lo:[0,0,1] neg_hi:[0,0,1]
	v_pk_add_f32 v[8:9], v[10:11], v[4:5]
	v_mov_b32_e32 v7, v3
	v_pk_add_f32 v[12:13], v[16:17], v[6:7] neg_lo:[0,1] neg_hi:[0,1]
	v_pk_fma_f32 v[8:9], v[8:9], 0.5, v[0:1] op_sel_hi:[1,0,1] neg_lo:[1,0,0] neg_hi:[1,0,0]
	v_pk_mul_f32 v[14:15], v[12:13], s[6:7] op_sel_hi:[1,0]
	v_pk_add_f32 v[24:25], v[6:7], v[4:5] neg_lo:[0,1] neg_hi:[0,1]
	v_pk_add_f32 v[2:3], v[0:1], v[16:17]
	v_pk_mul_f32 v[20:21], v[18:19], s[10:11] op_sel_hi:[1,0]
	v_pk_add_f32 v[22:23], v[22:23], v[24:25]
	v_pk_add_f32 v[24:25], v[8:9], v[14:15] op_sel:[0,1] op_sel_hi:[1,0] neg_lo:[0,1] neg_hi:[0,1]
	v_pk_add_f32 v[8:9], v[8:9], v[14:15] op_sel:[0,1] op_sel_hi:[1,0]
	v_pk_add_f32 v[2:3], v[2:3], v[10:11]
	v_pk_add_f32 v[8:9], v[8:9], v[20:21] op_sel:[0,1] op_sel_hi:[1,0]
	v_pk_add_f32 v[14:15], v[24:25], v[20:21] op_sel:[0,1] op_sel_hi:[1,0] neg_lo:[0,1] neg_hi:[0,1]
	v_pk_add_f32 v[2:3], v[2:3], v[4:5]
	v_mov_b32_e32 v20, v14
	v_mov_b32_e32 v21, v9
	v_pk_add_f32 v[2:3], v[2:3], v[6:7]
	v_pk_fma_f32 v[20:21], v[22:23], s[4:5], v[20:21] op_sel_hi:[1,0,1]
	ds_write2_b64 v37, v[2:3], v[20:21] offset1:55
	v_pk_add_f32 v[2:3], v[16:17], v[6:7]
	v_pk_add_f32 v[4:5], v[4:5], v[6:7] neg_lo:[0,1] neg_hi:[0,1]
	v_pk_fma_f32 v[0:1], v[2:3], 0.5, v[0:1] op_sel_hi:[1,0,1] neg_lo:[1,0,0] neg_hi:[1,0,0]
	v_pk_add_f32 v[2:3], v[10:11], v[16:17] neg_lo:[0,1] neg_hi:[0,1]
	v_pk_mul_f32 v[6:7], v[12:13], s[10:11] op_sel_hi:[1,0]
	v_pk_add_f32 v[2:3], v[2:3], v[4:5]
	v_pk_mul_f32 v[4:5], v[18:19], s[6:7] op_sel_hi:[1,0]
	v_mov_b32_e32 v9, v15
	v_pk_add_f32 v[10:11], v[0:1], v[4:5] op_sel:[0,1] op_sel_hi:[1,0]
	v_pk_add_f32 v[0:1], v[0:1], v[4:5] op_sel:[0,1] op_sel_hi:[1,0] neg_lo:[0,1] neg_hi:[0,1]
	v_pk_add_f32 v[4:5], v[10:11], v[6:7] op_sel:[0,1] op_sel_hi:[1,0] neg_lo:[0,1] neg_hi:[0,1]
	v_pk_add_f32 v[0:1], v[0:1], v[6:7] op_sel:[0,1] op_sel_hi:[1,0]
	v_mov_b32_e32 v6, v4
	v_mov_b32_e32 v7, v1
	;; [unrolled: 1-line block ×3, first 2 shown]
	v_pk_fma_f32 v[6:7], v[2:3], s[4:5], v[6:7] op_sel_hi:[1,0,1]
	v_pk_fma_f32 v[0:1], v[2:3], s[4:5], v[0:1] op_sel_hi:[1,0,1]
	ds_write2_b64 v37, v[6:7], v[0:1] offset0:110 offset1:165
	v_pk_fma_f32 v[0:1], v[22:23], s[4:5], v[8:9] op_sel_hi:[1,0,1]
	ds_write_b64 v37, v[0:1] offset:1760
	s_waitcnt lgkmcnt(0)
	; wave barrier
	s_waitcnt lgkmcnt(0)
	s_and_b64 exec, exec, vcc
	s_cbranch_execz .LBB0_15
; %bb.14:
	global_load_dwordx2 v[8:9], v37, s[8:9]
	global_load_dwordx2 v[10:11], v37, s[8:9] offset:200
	global_load_dwordx2 v[12:13], v37, s[8:9] offset:400
	;; [unrolled: 1-line block ×3, first 2 shown]
	ds_read_b64 v[16:17], v37
	global_load_dwordx2 v[20:21], v37, s[8:9] offset:800
	ds_read2_b64 v[0:3], v37 offset0:25 offset1:50
	ds_read2_b64 v[4:7], v37 offset0:75 offset1:100
	global_load_dwordx2 v[26:27], v37, s[8:9] offset:1000
	global_load_dwordx2 v[28:29], v37, s[8:9] offset:1200
	v_mad_u64_u32 v[24:25], s[6:7], s0, v116, 0
	v_mov_b32_e32 v32, v25
	v_mad_u64_u32 v[32:33], s[6:7], s1, v116, v[32:33]
	v_mov_b32_e32 v25, v32
	;; [unrolled: 2-line block ×4, first 2 shown]
	v_mov_b32_e32 v19, s13
	v_mov_b32_e32 v23, v30
	v_lshl_add_u64 v[18:19], v[22:23], 3, v[18:19]
	v_mov_b32_e32 v38, 0xc8
	v_lshl_add_u64 v[18:19], v[24:25], 3, v[18:19]
	s_mov_b32 s4, 0xdca01dca
	s_mul_i32 s2, s1, 0xc8
	v_mad_u64_u32 v[22:23], s[6:7], s0, v38, v[18:19]
	s_mov_b32 s5, 0x3f6dca01
	v_add_u32_e32 v23, s2, v23
	v_mad_u64_u32 v[24:25], s[6:7], s0, v38, v[22:23]
	v_add_u32_e32 v25, s2, v25
	v_mad_u64_u32 v[30:31], s[6:7], s0, v38, v[24:25]
	v_add_u32_e32 v31, s2, v31
	s_waitcnt vmcnt(6) lgkmcnt(2)
	v_mul_f32_e32 v32, v17, v9
	v_mul_f32_e32 v9, v16, v9
	v_fmac_f32_e32 v32, v16, v8
	v_fma_f32 v16, v8, v17, -v9
	global_load_dwordx2 v[8:9], v37, s[8:9] offset:1400
	s_waitcnt vmcnt(5) lgkmcnt(1)
	v_mul_f32_e32 v34, v3, v13
	v_mul_f32_e32 v13, v2, v13
	s_waitcnt vmcnt(4) lgkmcnt(0)
	v_mul_f32_e32 v35, v5, v15
	v_mul_f32_e32 v15, v4, v15
	v_fmac_f32_e32 v34, v2, v12
	v_fma_f32 v17, v12, v3, -v13
	v_fmac_f32_e32 v35, v4, v14
	v_fma_f32 v36, v14, v5, -v15
	v_cvt_f64_f32_e32 v[2:3], v16
	v_cvt_f64_f32_e32 v[12:13], v34
	;; [unrolled: 1-line block ×4, first 2 shown]
	global_load_dwordx2 v[34:35], v37, s[8:9] offset:1600
	v_mul_f32_e32 v33, v1, v11
	v_mul_f32_e32 v11, v0, v11
	v_fmac_f32_e32 v33, v0, v10
	v_fma_f32 v10, v10, v1, -v11
	v_cvt_f64_f32_e32 v[0:1], v32
	v_cvt_f64_f32_e32 v[4:5], v33
	v_mul_f64 v[0:1], v[0:1], s[4:5]
	v_mul_f64 v[2:3], v[2:3], s[4:5]
	;; [unrolled: 1-line block ×4, first 2 shown]
	v_cvt_f64_f32_e32 v[10:11], v10
	v_cvt_f64_f32_e32 v[32:33], v36
	v_cvt_f32_f64_e32 v0, v[0:1]
	v_cvt_f32_f64_e32 v1, v[2:3]
	;; [unrolled: 1-line block ×4, first 2 shown]
	global_load_dwordx2 v[12:13], v37, s[8:9] offset:1800
	v_mul_f64 v[10:11], v[10:11], s[4:5]
	v_mul_f64 v[14:15], v[14:15], s[4:5]
	;; [unrolled: 1-line block ×4, first 2 shown]
	v_cvt_f32_f64_e32 v3, v[10:11]
	v_cvt_f32_f64_e32 v5, v[14:15]
	;; [unrolled: 1-line block ×4, first 2 shown]
	global_store_dwordx2 v[18:19], v[0:1], off
	global_store_dwordx2 v[22:23], v[2:3], off
	;; [unrolled: 1-line block ×4, first 2 shown]
	s_waitcnt vmcnt(9)
	v_mul_f32_e32 v0, v7, v21
	v_fmac_f32_e32 v0, v6, v20
	v_cvt_f64_f32_e32 v[0:1], v0
	v_mul_f64 v[0:1], v[0:1], s[4:5]
	v_cvt_f32_f64_e32 v4, v[0:1]
	v_mul_f32_e32 v0, v6, v21
	v_fma_f32 v0, v20, v7, -v0
	global_load_dwordx2 v[6:7], v37, s[8:9] offset:2000
	v_cvt_f64_f32_e32 v[0:1], v0
	v_mul_f64 v[0:1], v[0:1], s[4:5]
	v_cvt_f32_f64_e32 v5, v[0:1]
	ds_read2_b64 v[0:3], v37 offset0:125 offset1:150
	v_mad_u64_u32 v[10:11], s[6:7], s0, v38, v[30:31]
	v_add_u32_e32 v11, s2, v11
	global_store_dwordx2 v[10:11], v[4:5], off
	s_waitcnt vmcnt(10) lgkmcnt(0)
	v_mul_f32_e32 v4, v1, v27
	v_fmac_f32_e32 v4, v0, v26
	v_mul_f32_e32 v0, v0, v27
	v_fma_f32 v0, v26, v1, -v0
	v_cvt_f64_f32_e32 v[4:5], v4
	v_cvt_f64_f32_e32 v[0:1], v0
	v_mul_f64 v[4:5], v[4:5], s[4:5]
	v_mul_f64 v[0:1], v[0:1], s[4:5]
	v_cvt_f32_f64_e32 v4, v[4:5]
	v_cvt_f32_f64_e32 v5, v[0:1]
	s_waitcnt vmcnt(9)
	v_mul_f32_e32 v0, v3, v29
	v_fmac_f32_e32 v0, v2, v28
	v_mad_u64_u32 v[10:11], s[6:7], s0, v38, v[10:11]
	v_cvt_f64_f32_e32 v[0:1], v0
	v_add_u32_e32 v11, s2, v11
	v_mul_f64 v[0:1], v[0:1], s[4:5]
	global_store_dwordx2 v[10:11], v[4:5], off
	v_cvt_f32_f64_e32 v4, v[0:1]
	v_mul_f32_e32 v0, v2, v29
	v_fma_f32 v0, v28, v3, -v0
	v_cvt_f64_f32_e32 v[0:1], v0
	v_mul_f64 v[0:1], v[0:1], s[4:5]
	v_cvt_f32_f64_e32 v5, v[0:1]
	ds_read2_b64 v[0:3], v37 offset0:175 offset1:200
	v_mad_u64_u32 v[10:11], s[6:7], s0, v38, v[10:11]
	v_add_u32_e32 v11, s2, v11
	global_store_dwordx2 v[10:11], v[4:5], off
	s_waitcnt vmcnt(10) lgkmcnt(0)
	v_mul_f32_e32 v4, v1, v9
	v_fmac_f32_e32 v4, v0, v8
	v_mul_f32_e32 v0, v0, v9
	v_fma_f32 v0, v8, v1, -v0
	v_cvt_f64_f32_e32 v[4:5], v4
	v_cvt_f64_f32_e32 v[0:1], v0
	v_mul_f64 v[4:5], v[4:5], s[4:5]
	v_mul_f64 v[0:1], v[0:1], s[4:5]
	v_cvt_f32_f64_e32 v4, v[4:5]
	v_cvt_f32_f64_e32 v5, v[0:1]
	s_waitcnt vmcnt(9)
	v_mul_f32_e32 v0, v3, v35
	v_fmac_f32_e32 v0, v2, v34
	v_mad_u64_u32 v[8:9], s[6:7], s0, v38, v[10:11]
	v_cvt_f64_f32_e32 v[0:1], v0
	v_add_u32_e32 v9, s2, v9
	v_mul_f64 v[0:1], v[0:1], s[4:5]
	global_store_dwordx2 v[8:9], v[4:5], off
	v_cvt_f32_f64_e32 v4, v[0:1]
	v_mul_f32_e32 v0, v2, v35
	v_fma_f32 v0, v34, v3, -v0
	v_cvt_f64_f32_e32 v[0:1], v0
	v_mul_f64 v[0:1], v[0:1], s[4:5]
	v_cvt_f32_f64_e32 v5, v[0:1]
	ds_read2_b64 v[0:3], v37 offset0:225 offset1:250
	v_mad_u64_u32 v[8:9], s[6:7], s0, v38, v[8:9]
	v_add_u32_e32 v9, s2, v9
	global_store_dwordx2 v[8:9], v[4:5], off
	s_waitcnt vmcnt(10) lgkmcnt(0)
	v_mul_f32_e32 v4, v1, v13
	v_fmac_f32_e32 v4, v0, v12
	v_mul_f32_e32 v0, v0, v13
	v_fma_f32 v0, v12, v1, -v0
	v_cvt_f64_f32_e32 v[4:5], v4
	v_cvt_f64_f32_e32 v[0:1], v0
	v_mul_f64 v[4:5], v[4:5], s[4:5]
	v_mul_f64 v[0:1], v[0:1], s[4:5]
	v_cvt_f32_f64_e32 v4, v[4:5]
	v_cvt_f32_f64_e32 v5, v[0:1]
	v_mad_u64_u32 v[0:1], s[6:7], s0, v38, v[8:9]
	v_add_u32_e32 v1, s2, v1
	global_store_dwordx2 v[0:1], v[4:5], off
	s_waitcnt vmcnt(6)
	v_mul_f32_e32 v4, v3, v7
	v_fmac_f32_e32 v4, v2, v6
	v_mul_f32_e32 v2, v2, v7
	v_fma_f32 v2, v6, v3, -v2
	v_cvt_f64_f32_e32 v[4:5], v4
	v_cvt_f64_f32_e32 v[2:3], v2
	v_mul_f64 v[4:5], v[4:5], s[4:5]
	v_mul_f64 v[2:3], v[2:3], s[4:5]
	v_mad_u64_u32 v[0:1], s[0:1], s0, v38, v[0:1]
	v_cvt_f32_f64_e32 v4, v[4:5]
	v_cvt_f32_f64_e32 v5, v[2:3]
	v_add_u32_e32 v1, s2, v1
	global_store_dwordx2 v[0:1], v[4:5], off
.LBB0_15:
	s_endpgm
	.section	.rodata,"a",@progbits
	.p2align	6, 0x0
	.amdhsa_kernel bluestein_single_fwd_len275_dim1_sp_op_CI_CI
		.amdhsa_group_segment_fixed_size 2200
		.amdhsa_private_segment_fixed_size 0
		.amdhsa_kernarg_size 104
		.amdhsa_user_sgpr_count 2
		.amdhsa_user_sgpr_dispatch_ptr 0
		.amdhsa_user_sgpr_queue_ptr 0
		.amdhsa_user_sgpr_kernarg_segment_ptr 1
		.amdhsa_user_sgpr_dispatch_id 0
		.amdhsa_user_sgpr_kernarg_preload_length 0
		.amdhsa_user_sgpr_kernarg_preload_offset 0
		.amdhsa_user_sgpr_private_segment_size 0
		.amdhsa_uses_dynamic_stack 0
		.amdhsa_enable_private_segment 0
		.amdhsa_system_sgpr_workgroup_id_x 1
		.amdhsa_system_sgpr_workgroup_id_y 0
		.amdhsa_system_sgpr_workgroup_id_z 0
		.amdhsa_system_sgpr_workgroup_info 0
		.amdhsa_system_vgpr_workitem_id 0
		.amdhsa_next_free_vgpr 146
		.amdhsa_next_free_sgpr 36
		.amdhsa_accum_offset 148
		.amdhsa_reserve_vcc 1
		.amdhsa_float_round_mode_32 0
		.amdhsa_float_round_mode_16_64 0
		.amdhsa_float_denorm_mode_32 3
		.amdhsa_float_denorm_mode_16_64 3
		.amdhsa_dx10_clamp 1
		.amdhsa_ieee_mode 1
		.amdhsa_fp16_overflow 0
		.amdhsa_tg_split 0
		.amdhsa_exception_fp_ieee_invalid_op 0
		.amdhsa_exception_fp_denorm_src 0
		.amdhsa_exception_fp_ieee_div_zero 0
		.amdhsa_exception_fp_ieee_overflow 0
		.amdhsa_exception_fp_ieee_underflow 0
		.amdhsa_exception_fp_ieee_inexact 0
		.amdhsa_exception_int_div_zero 0
	.end_amdhsa_kernel
	.text
.Lfunc_end0:
	.size	bluestein_single_fwd_len275_dim1_sp_op_CI_CI, .Lfunc_end0-bluestein_single_fwd_len275_dim1_sp_op_CI_CI
                                        ; -- End function
	.section	.AMDGPU.csdata,"",@progbits
; Kernel info:
; codeLenInByte = 7968
; NumSgprs: 42
; NumVgprs: 146
; NumAgprs: 0
; TotalNumVgprs: 146
; ScratchSize: 0
; MemoryBound: 0
; FloatMode: 240
; IeeeMode: 1
; LDSByteSize: 2200 bytes/workgroup (compile time only)
; SGPRBlocks: 5
; VGPRBlocks: 18
; NumSGPRsForWavesPerEU: 42
; NumVGPRsForWavesPerEU: 146
; AccumOffset: 148
; Occupancy: 3
; WaveLimiterHint : 1
; COMPUTE_PGM_RSRC2:SCRATCH_EN: 0
; COMPUTE_PGM_RSRC2:USER_SGPR: 2
; COMPUTE_PGM_RSRC2:TRAP_HANDLER: 0
; COMPUTE_PGM_RSRC2:TGID_X_EN: 1
; COMPUTE_PGM_RSRC2:TGID_Y_EN: 0
; COMPUTE_PGM_RSRC2:TGID_Z_EN: 0
; COMPUTE_PGM_RSRC2:TIDIG_COMP_CNT: 0
; COMPUTE_PGM_RSRC3_GFX90A:ACCUM_OFFSET: 36
; COMPUTE_PGM_RSRC3_GFX90A:TG_SPLIT: 0
	.text
	.p2alignl 6, 3212836864
	.fill 256, 4, 3212836864
	.type	__hip_cuid_b9111f2780e6c4ec,@object ; @__hip_cuid_b9111f2780e6c4ec
	.section	.bss,"aw",@nobits
	.globl	__hip_cuid_b9111f2780e6c4ec
__hip_cuid_b9111f2780e6c4ec:
	.byte	0                               ; 0x0
	.size	__hip_cuid_b9111f2780e6c4ec, 1

	.ident	"AMD clang version 19.0.0git (https://github.com/RadeonOpenCompute/llvm-project roc-6.4.0 25133 c7fe45cf4b819c5991fe208aaa96edf142730f1d)"
	.section	".note.GNU-stack","",@progbits
	.addrsig
	.addrsig_sym __hip_cuid_b9111f2780e6c4ec
	.amdgpu_metadata
---
amdhsa.kernels:
  - .agpr_count:     0
    .args:
      - .actual_access:  read_only
        .address_space:  global
        .offset:         0
        .size:           8
        .value_kind:     global_buffer
      - .actual_access:  read_only
        .address_space:  global
        .offset:         8
        .size:           8
        .value_kind:     global_buffer
      - .actual_access:  read_only
        .address_space:  global
        .offset:         16
        .size:           8
        .value_kind:     global_buffer
      - .actual_access:  read_only
        .address_space:  global
        .offset:         24
        .size:           8
        .value_kind:     global_buffer
      - .actual_access:  read_only
        .address_space:  global
        .offset:         32
        .size:           8
        .value_kind:     global_buffer
      - .offset:         40
        .size:           8
        .value_kind:     by_value
      - .address_space:  global
        .offset:         48
        .size:           8
        .value_kind:     global_buffer
      - .address_space:  global
        .offset:         56
        .size:           8
        .value_kind:     global_buffer
      - .address_space:  global
        .offset:         64
        .size:           8
        .value_kind:     global_buffer
      - .address_space:  global
        .offset:         72
        .size:           8
        .value_kind:     global_buffer
      - .offset:         80
        .size:           4
        .value_kind:     by_value
      - .address_space:  global
        .offset:         88
        .size:           8
        .value_kind:     global_buffer
      - .address_space:  global
        .offset:         96
        .size:           8
        .value_kind:     global_buffer
    .group_segment_fixed_size: 2200
    .kernarg_segment_align: 8
    .kernarg_segment_size: 104
    .language:       OpenCL C
    .language_version:
      - 2
      - 0
    .max_flat_workgroup_size: 55
    .name:           bluestein_single_fwd_len275_dim1_sp_op_CI_CI
    .private_segment_fixed_size: 0
    .sgpr_count:     42
    .sgpr_spill_count: 0
    .symbol:         bluestein_single_fwd_len275_dim1_sp_op_CI_CI.kd
    .uniform_work_group_size: 1
    .uses_dynamic_stack: false
    .vgpr_count:     146
    .vgpr_spill_count: 0
    .wavefront_size: 64
amdhsa.target:   amdgcn-amd-amdhsa--gfx950
amdhsa.version:
  - 1
  - 2
...

	.end_amdgpu_metadata
